;; amdgpu-corpus repo=ROCm/rocFFT kind=compiled arch=gfx906 opt=O3
	.text
	.amdgcn_target "amdgcn-amd-amdhsa--gfx906"
	.amdhsa_code_object_version 6
	.protected	fft_rtc_fwd_len189_factors_7_3_3_3_wgs_63_tpt_21_dp_op_CI_CI_unitstride_sbrr_dirReg ; -- Begin function fft_rtc_fwd_len189_factors_7_3_3_3_wgs_63_tpt_21_dp_op_CI_CI_unitstride_sbrr_dirReg
	.globl	fft_rtc_fwd_len189_factors_7_3_3_3_wgs_63_tpt_21_dp_op_CI_CI_unitstride_sbrr_dirReg
	.p2align	8
	.type	fft_rtc_fwd_len189_factors_7_3_3_3_wgs_63_tpt_21_dp_op_CI_CI_unitstride_sbrr_dirReg,@function
fft_rtc_fwd_len189_factors_7_3_3_3_wgs_63_tpt_21_dp_op_CI_CI_unitstride_sbrr_dirReg: ; @fft_rtc_fwd_len189_factors_7_3_3_3_wgs_63_tpt_21_dp_op_CI_CI_unitstride_sbrr_dirReg
; %bb.0:
	s_load_dwordx4 s[8:11], s[4:5], 0x58
	s_load_dwordx4 s[12:15], s[4:5], 0x0
	;; [unrolled: 1-line block ×3, first 2 shown]
	v_mul_u32_u24_e32 v1, 0xc31, v0
	v_lshrrev_b32_e32 v1, 16, v1
	v_mad_u64_u32 v[3:4], s[0:1], s6, 3, v[1:2]
	v_mov_b32_e32 v5, 0
	v_mov_b32_e32 v1, 0
	;; [unrolled: 1-line block ×3, first 2 shown]
	s_waitcnt lgkmcnt(0)
	v_cmp_lt_u64_e64 s[0:1], s[14:15], 2
	v_mov_b32_e32 v2, 0
	v_mov_b32_e32 v29, v2
	;; [unrolled: 1-line block ×3, first 2 shown]
	s_and_b64 vcc, exec, s[0:1]
	v_mov_b32_e32 v28, v1
	v_mov_b32_e32 v30, v3
	s_cbranch_vccnz .LBB0_8
; %bb.1:
	s_load_dwordx2 s[0:1], s[4:5], 0x10
	s_add_u32 s2, s18, 8
	s_addc_u32 s3, s19, 0
	s_add_u32 s6, s16, 8
	v_mov_b32_e32 v1, 0
	s_addc_u32 s7, s17, 0
	v_mov_b32_e32 v2, 0
	s_waitcnt lgkmcnt(0)
	s_add_u32 s20, s0, 8
	v_mov_b32_e32 v29, v2
	v_mov_b32_e32 v8, v4
	s_addc_u32 s21, s1, 0
	s_mov_b64 s[22:23], 1
	v_mov_b32_e32 v28, v1
	v_mov_b32_e32 v7, v3
.LBB0_2:                                ; =>This Inner Loop Header: Depth=1
	s_load_dwordx2 s[24:25], s[20:21], 0x0
                                        ; implicit-def: $vgpr30_vgpr31
	s_waitcnt lgkmcnt(0)
	v_or_b32_e32 v6, s25, v8
	v_cmp_ne_u64_e32 vcc, 0, v[5:6]
	s_and_saveexec_b64 s[0:1], vcc
	s_xor_b64 s[26:27], exec, s[0:1]
	s_cbranch_execz .LBB0_4
; %bb.3:                                ;   in Loop: Header=BB0_2 Depth=1
	v_cvt_f32_u32_e32 v4, s24
	v_cvt_f32_u32_e32 v6, s25
	s_sub_u32 s0, 0, s24
	s_subb_u32 s1, 0, s25
	v_mac_f32_e32 v4, 0x4f800000, v6
	v_rcp_f32_e32 v4, v4
	v_mul_f32_e32 v4, 0x5f7ffffc, v4
	v_mul_f32_e32 v6, 0x2f800000, v4
	v_trunc_f32_e32 v6, v6
	v_mac_f32_e32 v4, 0xcf800000, v6
	v_cvt_u32_f32_e32 v6, v6
	v_cvt_u32_f32_e32 v4, v4
	v_mul_lo_u32 v9, s0, v6
	v_mul_hi_u32 v10, s0, v4
	v_mul_lo_u32 v12, s1, v4
	v_mul_lo_u32 v11, s0, v4
	v_add_u32_e32 v9, v10, v9
	v_add_u32_e32 v9, v9, v12
	v_mul_hi_u32 v10, v4, v11
	v_mul_lo_u32 v12, v4, v9
	v_mul_hi_u32 v14, v4, v9
	v_mul_hi_u32 v13, v6, v11
	v_mul_lo_u32 v11, v6, v11
	v_mul_hi_u32 v15, v6, v9
	v_add_co_u32_e32 v10, vcc, v10, v12
	v_addc_co_u32_e32 v12, vcc, 0, v14, vcc
	v_mul_lo_u32 v9, v6, v9
	v_add_co_u32_e32 v10, vcc, v10, v11
	v_addc_co_u32_e32 v10, vcc, v12, v13, vcc
	v_addc_co_u32_e32 v11, vcc, 0, v15, vcc
	v_add_co_u32_e32 v9, vcc, v10, v9
	v_addc_co_u32_e32 v10, vcc, 0, v11, vcc
	v_add_co_u32_e32 v4, vcc, v4, v9
	v_addc_co_u32_e32 v6, vcc, v6, v10, vcc
	v_mul_lo_u32 v9, s0, v6
	v_mul_hi_u32 v10, s0, v4
	v_mul_lo_u32 v11, s1, v4
	v_mul_lo_u32 v12, s0, v4
	v_add_u32_e32 v9, v10, v9
	v_add_u32_e32 v9, v9, v11
	v_mul_lo_u32 v13, v4, v9
	v_mul_hi_u32 v14, v4, v12
	v_mul_hi_u32 v15, v4, v9
	;; [unrolled: 1-line block ×3, first 2 shown]
	v_mul_lo_u32 v12, v6, v12
	v_mul_hi_u32 v10, v6, v9
	v_add_co_u32_e32 v13, vcc, v14, v13
	v_addc_co_u32_e32 v14, vcc, 0, v15, vcc
	v_mul_lo_u32 v9, v6, v9
	v_add_co_u32_e32 v12, vcc, v13, v12
	v_addc_co_u32_e32 v11, vcc, v14, v11, vcc
	v_addc_co_u32_e32 v10, vcc, 0, v10, vcc
	v_add_co_u32_e32 v9, vcc, v11, v9
	v_addc_co_u32_e32 v10, vcc, 0, v10, vcc
	v_add_co_u32_e32 v4, vcc, v4, v9
	v_addc_co_u32_e32 v6, vcc, v6, v10, vcc
	v_mad_u64_u32 v[9:10], s[0:1], v7, v6, 0
	v_mul_hi_u32 v11, v7, v4
	v_add_co_u32_e32 v13, vcc, v11, v9
	v_addc_co_u32_e32 v14, vcc, 0, v10, vcc
	v_mad_u64_u32 v[9:10], s[0:1], v8, v4, 0
	v_mad_u64_u32 v[11:12], s[0:1], v8, v6, 0
	v_add_co_u32_e32 v4, vcc, v13, v9
	v_addc_co_u32_e32 v4, vcc, v14, v10, vcc
	v_addc_co_u32_e32 v6, vcc, 0, v12, vcc
	v_add_co_u32_e32 v4, vcc, v4, v11
	v_addc_co_u32_e32 v6, vcc, 0, v6, vcc
	v_mul_lo_u32 v11, s25, v4
	v_mul_lo_u32 v12, s24, v6
	v_mad_u64_u32 v[9:10], s[0:1], s24, v4, 0
	v_add3_u32 v10, v10, v12, v11
	v_sub_u32_e32 v11, v8, v10
	v_mov_b32_e32 v12, s25
	v_sub_co_u32_e32 v9, vcc, v7, v9
	v_subb_co_u32_e64 v11, s[0:1], v11, v12, vcc
	v_subrev_co_u32_e64 v12, s[0:1], s24, v9
	v_subbrev_co_u32_e64 v11, s[0:1], 0, v11, s[0:1]
	v_cmp_le_u32_e64 s[0:1], s25, v11
	v_cndmask_b32_e64 v13, 0, -1, s[0:1]
	v_cmp_le_u32_e64 s[0:1], s24, v12
	v_cndmask_b32_e64 v12, 0, -1, s[0:1]
	v_cmp_eq_u32_e64 s[0:1], s25, v11
	v_cndmask_b32_e64 v11, v13, v12, s[0:1]
	v_add_co_u32_e64 v12, s[0:1], 2, v4
	v_addc_co_u32_e64 v13, s[0:1], 0, v6, s[0:1]
	v_add_co_u32_e64 v14, s[0:1], 1, v4
	v_addc_co_u32_e64 v15, s[0:1], 0, v6, s[0:1]
	v_subb_co_u32_e32 v10, vcc, v8, v10, vcc
	v_cmp_ne_u32_e64 s[0:1], 0, v11
	v_cmp_le_u32_e32 vcc, s25, v10
	v_cndmask_b32_e64 v11, v15, v13, s[0:1]
	v_cndmask_b32_e64 v13, 0, -1, vcc
	v_cmp_le_u32_e32 vcc, s24, v9
	v_cndmask_b32_e64 v9, 0, -1, vcc
	v_cmp_eq_u32_e32 vcc, s25, v10
	v_cndmask_b32_e32 v9, v13, v9, vcc
	v_cmp_ne_u32_e32 vcc, 0, v9
	v_cndmask_b32_e32 v31, v6, v11, vcc
	v_cndmask_b32_e64 v6, v14, v12, s[0:1]
	v_cndmask_b32_e32 v30, v4, v6, vcc
.LBB0_4:                                ;   in Loop: Header=BB0_2 Depth=1
	s_andn2_saveexec_b64 s[0:1], s[26:27]
	s_cbranch_execz .LBB0_6
; %bb.5:                                ;   in Loop: Header=BB0_2 Depth=1
	v_cvt_f32_u32_e32 v4, s24
	s_sub_i32 s26, 0, s24
	v_mov_b32_e32 v31, v5
	v_rcp_iflag_f32_e32 v4, v4
	v_mul_f32_e32 v4, 0x4f7ffffe, v4
	v_cvt_u32_f32_e32 v4, v4
	v_mul_lo_u32 v6, s26, v4
	v_mul_hi_u32 v6, v4, v6
	v_add_u32_e32 v4, v4, v6
	v_mul_hi_u32 v4, v7, v4
	v_mul_lo_u32 v6, v4, s24
	v_add_u32_e32 v9, 1, v4
	v_sub_u32_e32 v6, v7, v6
	v_subrev_u32_e32 v10, s24, v6
	v_cmp_le_u32_e32 vcc, s24, v6
	v_cndmask_b32_e32 v6, v6, v10, vcc
	v_cndmask_b32_e32 v4, v4, v9, vcc
	v_add_u32_e32 v9, 1, v4
	v_cmp_le_u32_e32 vcc, s24, v6
	v_cndmask_b32_e32 v30, v4, v9, vcc
.LBB0_6:                                ;   in Loop: Header=BB0_2 Depth=1
	s_or_b64 exec, exec, s[0:1]
	v_mul_lo_u32 v4, v31, s24
	v_mul_lo_u32 v6, v30, s25
	v_mad_u64_u32 v[9:10], s[0:1], v30, s24, 0
	s_load_dwordx2 s[0:1], s[6:7], 0x0
	s_load_dwordx2 s[24:25], s[2:3], 0x0
	v_add3_u32 v4, v10, v6, v4
	v_sub_co_u32_e32 v6, vcc, v7, v9
	v_subb_co_u32_e32 v4, vcc, v8, v4, vcc
	s_waitcnt lgkmcnt(0)
	v_mul_lo_u32 v7, s0, v4
	v_mul_lo_u32 v8, s1, v6
	v_mad_u64_u32 v[1:2], s[0:1], s0, v6, v[1:2]
	s_add_u32 s22, s22, 1
	s_addc_u32 s23, s23, 0
	s_add_u32 s2, s2, 8
	v_mul_lo_u32 v4, s24, v4
	v_mul_lo_u32 v9, s25, v6
	v_mad_u64_u32 v[28:29], s[0:1], s24, v6, v[28:29]
	v_add3_u32 v2, v8, v2, v7
	s_addc_u32 s3, s3, 0
	v_mov_b32_e32 v6, s14
	s_add_u32 s6, s6, 8
	v_mov_b32_e32 v7, s15
	s_addc_u32 s7, s7, 0
	v_cmp_ge_u64_e32 vcc, s[22:23], v[6:7]
	s_add_u32 s20, s20, 8
	v_add3_u32 v29, v9, v29, v4
	s_addc_u32 s21, s21, 0
	s_cbranch_vccnz .LBB0_8
; %bb.7:                                ;   in Loop: Header=BB0_2 Depth=1
	v_mov_b32_e32 v7, v30
	v_mov_b32_e32 v8, v31
	s_branch .LBB0_2
.LBB0_8:
	s_mov_b32 s2, 0xaaaaaaab
	s_load_dwordx2 s[0:1], s[4:5], 0x28
	v_mul_hi_u32 v4, v3, s2
	s_lshl_b64 s[6:7], s[14:15], 3
	s_add_u32 s2, s18, s6
	s_addc_u32 s3, s19, s7
	v_lshrrev_b32_e32 v4, 1, v4
	v_lshl_add_u32 v4, v4, 1, v4
	s_waitcnt lgkmcnt(0)
	v_cmp_gt_u64_e32 vcc, s[0:1], v[30:31]
	v_cmp_le_u64_e64 s[0:1], s[0:1], v[30:31]
	v_sub_u32_e32 v3, v3, v4
                                        ; implicit-def: $vgpr32
                                        ; implicit-def: $vgpr35
	s_and_saveexec_b64 s[4:5], s[0:1]
	s_xor_b64 s[0:1], exec, s[4:5]
; %bb.9:
	s_mov_b32 s4, 0xc30c30d
	v_mul_hi_u32 v1, v0, s4
	v_mul_u32_u24_e32 v1, 21, v1
	v_sub_u32_e32 v32, v0, v1
	v_add_u32_e32 v35, 21, v32
                                        ; implicit-def: $vgpr0
                                        ; implicit-def: $vgpr1_vgpr2
; %bb.10:
	s_or_saveexec_b64 s[4:5], s[0:1]
	v_mul_u32_u24_e32 v3, 0xbd, v3
	v_lshlrev_b32_e32 v37, 4, v3
	s_xor_b64 exec, exec, s[4:5]
	s_cbranch_execz .LBB0_12
; %bb.11:
	s_add_u32 s0, s16, s6
	s_addc_u32 s1, s17, s7
	s_load_dwordx2 s[0:1], s[0:1], 0x0
	s_mov_b32 s6, 0xc30c30d
	v_mul_hi_u32 v5, v0, s6
	s_waitcnt lgkmcnt(0)
	v_mul_lo_u32 v6, s1, v30
	v_mul_lo_u32 v7, s0, v31
	v_mad_u64_u32 v[3:4], s[0:1], s0, v30, 0
	v_mul_u32_u24_e32 v5, 21, v5
	v_sub_u32_e32 v32, v0, v5
	v_add3_u32 v4, v4, v7, v6
	v_lshlrev_b64 v[3:4], 4, v[3:4]
	v_mov_b32_e32 v0, s9
	v_add_co_u32_e64 v3, s[0:1], s8, v3
	v_addc_co_u32_e64 v4, s[0:1], v0, v4, s[0:1]
	v_lshlrev_b64 v[0:1], 4, v[1:2]
	v_lshlrev_b32_e32 v36, 4, v32
	v_add_co_u32_e64 v0, s[0:1], v3, v0
	v_addc_co_u32_e64 v1, s[0:1], v4, v1, s[0:1]
	v_add_co_u32_e64 v33, s[0:1], v0, v36
	v_addc_co_u32_e64 v34, s[0:1], 0, v1, s[0:1]
	global_load_dwordx4 v[0:3], v[33:34], off
	global_load_dwordx4 v[4:7], v[33:34], off offset:336
	global_load_dwordx4 v[8:11], v[33:34], off offset:672
	global_load_dwordx4 v[12:15], v[33:34], off offset:1008
	global_load_dwordx4 v[16:19], v[33:34], off offset:1344
	global_load_dwordx4 v[20:23], v[33:34], off offset:1680
	global_load_dwordx4 v[24:27], v[33:34], off offset:2016
	global_load_dwordx4 v[38:41], v[33:34], off offset:2352
	global_load_dwordx4 v[42:45], v[33:34], off offset:2688
	v_add_u32_e32 v35, 21, v32
	v_add3_u32 v33, 0, v37, v36
	s_waitcnt vmcnt(8)
	ds_write_b128 v33, v[0:3]
	s_waitcnt vmcnt(7)
	ds_write_b128 v33, v[4:7] offset:336
	s_waitcnt vmcnt(6)
	ds_write_b128 v33, v[8:11] offset:672
	;; [unrolled: 2-line block ×8, first 2 shown]
.LBB0_12:
	s_or_b64 exec, exec, s[4:5]
	v_add_u32_e32 v34, 0, v37
	v_lshlrev_b32_e32 v0, 4, v32
	v_add_u32_e32 v36, v34, v0
	v_add_u32_e32 v0, 0, v0
	;; [unrolled: 1-line block ×3, first 2 shown]
	s_load_dwordx2 s[2:3], s[2:3], 0x0
	s_waitcnt lgkmcnt(0)
	; wave barrier
	s_waitcnt lgkmcnt(0)
	ds_read_b128 v[8:11], v33 offset:432
	ds_read_b128 v[12:15], v33 offset:2592
	;; [unrolled: 1-line block ×4, first 2 shown]
	ds_read_b128 v[42:45], v36
	ds_read_b128 v[0:3], v33 offset:336
	ds_read_b128 v[4:7], v33 offset:768
	ds_read_b128 v[16:19], v33 offset:2928
	ds_read_b128 v[24:27], v33 offset:864
	s_waitcnt lgkmcnt(7)
	v_add_f64 v[50:51], v[8:9], v[12:13]
	v_add_f64 v[52:53], v[10:11], v[14:15]
	v_add_f64 v[54:55], v[8:9], -v[12:13]
	v_add_f64 v[56:57], v[10:11], -v[14:15]
	s_waitcnt lgkmcnt(0)
	v_add_f64 v[58:59], v[24:25], v[20:21]
	ds_read_b128 v[8:11], v33 offset:1200
	ds_read_b128 v[12:15], v33 offset:2496
	;; [unrolled: 1-line block ×3, first 2 shown]
	v_add_f64 v[60:61], v[26:27], v[22:23]
	v_add_f64 v[62:63], v[24:25], -v[20:21]
	v_add_f64 v[64:65], v[26:27], -v[22:23]
	s_mov_b32 s22, 0x37e14327
	s_waitcnt lgkmcnt(0)
	v_add_f64 v[66:67], v[46:47], v[38:39]
	v_add_f64 v[38:39], v[38:39], -v[46:47]
	v_add_f64 v[46:47], v[58:59], v[50:51]
	v_add_f64 v[68:69], v[48:49], v[40:41]
	v_add_f64 v[40:41], v[40:41], -v[48:49]
	v_add_f64 v[48:49], v[60:61], v[52:53]
	v_add_f64 v[70:71], v[58:59], -v[50:51]
	s_mov_b32 s16, 0x36b3c0b5
	v_add_f64 v[50:51], v[50:51], -v[66:67]
	v_add_f64 v[58:59], v[66:67], -v[58:59]
	v_add_f64 v[46:47], v[66:67], v[46:47]
	s_mov_b32 s23, 0x3fe948f6
	s_mov_b32 s17, 0x3fac98ee
	v_add_f64 v[72:73], v[60:61], -v[52:53]
	v_add_f64 v[52:53], v[52:53], -v[68:69]
	;; [unrolled: 1-line block ×3, first 2 shown]
	v_add_f64 v[74:75], v[38:39], v[62:63]
	v_add_f64 v[76:77], v[40:41], v[64:65]
	v_add_f64 v[78:79], v[38:39], -v[62:63]
	v_add_f64 v[66:67], v[40:41], -v[64:65]
	v_add_f64 v[48:49], v[68:69], v[48:49]
	v_add_f64 v[68:69], v[54:55], -v[38:39]
	v_add_f64 v[62:63], v[62:63], -v[54:55]
	;; [unrolled: 1-line block ×3, first 2 shown]
	v_add_f64 v[38:39], v[42:43], v[46:47]
	v_mul_f64 v[42:43], v[50:51], s[22:23]
	v_mul_f64 v[50:51], v[58:59], s[16:17]
	s_mov_b32 s26, 0xe976ee23
	s_mov_b32 s4, 0x429ad128
	;; [unrolled: 1-line block ×8, first 2 shown]
	v_add_f64 v[80:81], v[56:57], -v[40:41]
	v_add_f64 v[54:55], v[74:75], v[54:55]
	v_add_f64 v[56:57], v[76:77], v[56:57]
	v_add_f64 v[40:41], v[44:45], v[48:49]
	v_mul_f64 v[44:45], v[52:53], s[22:23]
	v_mul_f64 v[52:53], v[60:61], s[16:17]
	;; [unrolled: 1-line block ×5, first 2 shown]
	v_fma_f64 v[58:59], v[58:59], s[16:17], v[42:43]
	v_fma_f64 v[50:51], v[70:71], s[6:7], -v[50:51]
	v_fma_f64 v[42:43], v[70:71], s[8:9], -v[42:43]
	v_mul_f64 v[70:71], v[64:65], s[4:5]
	s_mov_b32 s28, 0xaaaaaaaa
	s_mov_b32 s24, 0xb247c609
	;; [unrolled: 1-line block ×6, first 2 shown]
	v_fma_f64 v[46:47], v[46:47], s[28:29], v[38:39]
	v_fma_f64 v[60:61], v[60:61], s[16:17], v[44:45]
	v_fma_f64 v[52:53], v[72:73], s[6:7], -v[52:53]
	v_fma_f64 v[44:45], v[72:73], s[8:9], -v[44:45]
	v_fma_f64 v[72:73], v[68:69], s[24:25], v[74:75]
	v_fma_f64 v[62:63], v[62:63], s[4:5], -v[74:75]
	v_fma_f64 v[48:49], v[48:49], s[28:29], v[40:41]
	v_fma_f64 v[68:69], v[68:69], s[20:21], -v[76:77]
	v_fma_f64 v[64:65], v[64:65], s[4:5], -v[66:67]
	v_fma_f64 v[66:67], v[80:81], s[24:25], v[66:67]
	v_fma_f64 v[70:71], v[80:81], s[20:21], -v[70:71]
	s_mov_b32 s18, 0x37c3f68c
	s_mov_b32 s19, 0x3fdc38aa
	v_add_f64 v[74:75], v[58:59], v[46:47]
	v_add_f64 v[50:51], v[50:51], v[46:47]
	;; [unrolled: 1-line block ×4, first 2 shown]
	v_fma_f64 v[46:47], v[56:57], s[18:19], v[64:65]
	v_fma_f64 v[62:63], v[54:55], s[18:19], v[62:63]
	v_add_f64 v[64:65], v[60:61], v[48:49]
	v_add_f64 v[60:61], v[44:45], v[48:49]
	v_fma_f64 v[70:71], v[56:57], s[18:19], v[70:71]
	v_fma_f64 v[68:69], v[54:55], s[18:19], v[68:69]
	;; [unrolled: 1-line block ×4, first 2 shown]
	v_add_f64 v[42:43], v[50:51], -v[46:47]
	v_add_f64 v[44:45], v[62:63], v[52:53]
	v_add_f64 v[46:47], v[50:51], v[46:47]
	v_add_f64 v[48:49], v[52:53], -v[62:63]
	v_add_f64 v[50:51], v[58:59], v[70:71]
	v_add_f64 v[52:53], v[60:61], -v[68:69]
	v_add_f64 v[54:55], v[58:59], -v[70:71]
	v_add_f64 v[56:57], v[68:69], v[60:61]
	v_add_f64 v[58:59], v[74:75], v[66:67]
	v_add_f64 v[60:61], v[64:65], -v[72:73]
	ds_read_b128 v[20:23], v33 offset:1632
	ds_read_b128 v[24:27], v33 offset:2064
	v_add_f64 v[62:63], v[74:75], -v[66:67]
	v_add_f64 v[64:65], v[72:73], v[64:65]
	s_movk_i32 s0, 0x70
	v_mad_u32_u24 v66, v32, s0, v34
	v_cmp_gt_u32_e64 s[0:1], 6, v32
	s_waitcnt lgkmcnt(0)
	; wave barrier
	s_waitcnt lgkmcnt(0)
	ds_write_b128 v66, v[38:41]
	ds_write_b128 v66, v[58:61] offset:16
	ds_write_b128 v66, v[50:53] offset:32
	;; [unrolled: 1-line block ×6, first 2 shown]
	s_and_saveexec_b64 s[14:15], s[0:1]
	s_cbranch_execz .LBB0_14
; %bb.13:
	v_add_f64 v[42:43], v[6:7], v[18:19]
	v_add_f64 v[44:45], v[10:11], v[14:15]
	v_add_f64 v[38:39], v[24:25], -v[20:21]
	v_add_f64 v[40:41], v[8:9], -v[12:13]
	;; [unrolled: 1-line block ×3, first 2 shown]
	v_add_f64 v[4:5], v[4:5], v[16:17]
	v_add_f64 v[8:9], v[8:9], v[12:13]
	v_add_f64 v[48:49], v[22:23], v[26:27]
	v_add_f64 v[20:21], v[20:21], v[24:25]
	v_add_f64 v[16:17], v[44:45], v[42:43]
	v_add_f64 v[6:7], v[6:7], -v[18:19]
	v_add_f64 v[12:13], v[38:39], -v[40:41]
	;; [unrolled: 1-line block ×3, first 2 shown]
	v_add_f64 v[24:25], v[38:39], v[40:41]
	v_add_f64 v[38:39], v[8:9], v[4:5]
	v_add_f64 v[22:23], v[26:27], -v[22:23]
	v_add_f64 v[10:11], v[10:11], -v[14:15]
	v_add_f64 v[16:17], v[48:49], v[16:17]
	v_add_f64 v[14:15], v[42:43], -v[48:49]
	v_add_f64 v[40:41], v[40:41], -v[46:47]
	;; [unrolled: 1-line block ×4, first 2 shown]
	v_add_f64 v[38:39], v[20:21], v[38:39]
	v_add_f64 v[54:55], v[6:7], -v[22:23]
	v_add_f64 v[52:53], v[22:23], -v[10:11]
	v_add_f64 v[2:3], v[2:3], v[16:17]
	v_mul_f64 v[14:15], v[14:15], s[22:23]
	v_add_f64 v[22:23], v[22:23], v[10:11]
	v_add_f64 v[42:43], v[44:45], -v[42:43]
	v_add_f64 v[10:11], v[10:11], -v[6:7]
	v_mul_f64 v[12:13], v[12:13], s[26:27]
	v_add_f64 v[20:21], v[20:21], -v[8:9]
	v_mul_f64 v[56:57], v[40:41], s[4:5]
	v_add_f64 v[0:1], v[0:1], v[38:39]
	v_mul_f64 v[50:51], v[50:51], s[22:23]
	v_mul_f64 v[52:53], v[52:53], s[26:27]
	v_add_f64 v[24:25], v[24:25], v[46:47]
	v_mul_f64 v[46:47], v[26:27], s[16:17]
	v_fma_f64 v[16:17], v[16:17], s[28:29], v[2:3]
	v_fma_f64 v[26:27], v[26:27], s[16:17], v[14:15]
	v_fma_f64 v[14:15], v[42:43], s[8:9], -v[14:15]
	v_add_f64 v[4:5], v[8:9], -v[4:5]
	v_mul_f64 v[8:9], v[10:11], s[4:5]
	v_fma_f64 v[48:49], v[18:19], s[24:25], v[12:13]
	v_add_f64 v[22:23], v[22:23], v[6:7]
	v_mul_f64 v[6:7], v[20:21], s[16:17]
	v_fma_f64 v[18:19], v[18:19], s[20:21], -v[56:57]
	v_fma_f64 v[38:39], v[38:39], s[28:29], v[0:1]
	v_fma_f64 v[44:45], v[20:21], s[16:17], v[50:51]
	;; [unrolled: 1-line block ×3, first 2 shown]
	v_fma_f64 v[42:43], v[42:43], s[6:7], -v[46:47]
	v_add_f64 v[46:47], v[14:15], v[16:17]
	v_fma_f64 v[14:15], v[4:5], s[8:9], -v[50:51]
	v_fma_f64 v[8:9], v[54:55], s[20:21], -v[8:9]
	;; [unrolled: 1-line block ×3, first 2 shown]
	v_fma_f64 v[40:41], v[24:25], s[18:19], v[18:19]
	v_fma_f64 v[18:19], v[4:5], s[6:7], -v[6:7]
	v_fma_f64 v[10:11], v[10:11], s[4:5], -v[52:53]
	v_fma_f64 v[48:49], v[24:25], s[18:19], v[48:49]
	v_add_f64 v[26:27], v[26:27], v[16:17]
	v_add_f64 v[20:21], v[44:45], v[38:39]
	v_fma_f64 v[44:45], v[22:23], s[18:19], v[58:59]
	v_add_f64 v[16:17], v[42:43], v[16:17]
	v_add_f64 v[42:43], v[14:15], v[38:39]
	v_fma_f64 v[8:9], v[22:23], s[18:19], v[8:9]
	v_fma_f64 v[12:13], v[24:25], s[18:19], v[12:13]
	v_add_f64 v[38:39], v[18:19], v[38:39]
	v_fma_f64 v[50:51], v[22:23], s[18:19], v[10:11]
	v_add_f64 v[6:7], v[48:49], v[26:27]
	v_add_f64 v[26:27], v[26:27], -v[48:49]
	v_add_f64 v[24:25], v[20:21], v[44:45]
	v_add_f64 v[4:5], v[20:21], -v[44:45]
	v_add_f64 v[22:23], v[46:47], -v[40:41]
	v_add_f64 v[20:21], v[42:43], v[8:9]
	v_add_f64 v[14:15], v[16:17], -v[12:13]
	v_add_f64 v[18:19], v[12:13], v[16:17]
	;; [unrolled: 2-line block ×3, first 2 shown]
	v_add_f64 v[10:11], v[40:41], v[46:47]
	v_add_f64 v[8:9], v[42:43], -v[8:9]
	v_mul_i32_i24_e32 v38, 0x70, v35
	v_add3_u32 v38, 0, v38, v37
	ds_write_b128 v38, v[0:3]
	ds_write_b128 v38, v[24:27] offset:16
	ds_write_b128 v38, v[20:23] offset:32
	;; [unrolled: 1-line block ×6, first 2 shown]
.LBB0_14:
	s_or_b64 exec, exec, s[14:15]
	v_mov_b32_e32 v0, 37
	v_mul_lo_u16_sdwa v1, v32, v0 dst_sel:DWORD dst_unused:UNUSED_PAD src0_sel:BYTE_0 src1_sel:DWORD
	v_sub_u16_sdwa v2, v32, v1 dst_sel:DWORD dst_unused:UNUSED_PAD src0_sel:DWORD src1_sel:BYTE_1
	v_lshrrev_b16_e32 v2, 1, v2
	v_and_b32_e32 v2, 0x7f, v2
	v_add_u16_sdwa v1, v2, v1 dst_sel:DWORD dst_unused:UNUSED_PAD src0_sel:DWORD src1_sel:BYTE_1
	v_lshrrev_b16_e32 v74, 2, v1
	v_mul_lo_u16_e32 v1, 7, v74
	v_sub_u16_e32 v75, v32, v1
	v_mov_b32_e32 v76, 5
	v_lshlrev_b32_sdwa v1, v76, v75 dst_sel:DWORD dst_unused:UNUSED_PAD src0_sel:DWORD src1_sel:BYTE_0
	s_waitcnt lgkmcnt(0)
	; wave barrier
	s_waitcnt lgkmcnt(0)
	global_load_dwordx4 v[4:7], v1, s[12:13] offset:16
	global_load_dwordx4 v[8:11], v1, s[12:13]
	v_mul_lo_u16_sdwa v1, v35, v0 dst_sel:DWORD dst_unused:UNUSED_PAD src0_sel:BYTE_0 src1_sel:DWORD
	v_sub_u16_sdwa v2, v35, v1 dst_sel:DWORD dst_unused:UNUSED_PAD src0_sel:DWORD src1_sel:BYTE_1
	v_lshrrev_b16_e32 v2, 1, v2
	v_and_b32_e32 v2, 0x7f, v2
	v_add_u16_sdwa v1, v2, v1 dst_sel:DWORD dst_unused:UNUSED_PAD src0_sel:DWORD src1_sel:BYTE_1
	v_lshrrev_b16_e32 v77, 2, v1
	v_mul_lo_u16_e32 v1, 7, v77
	v_add_u32_e32 v3, 42, v32
	v_sub_u16_e32 v78, v35, v1
	v_lshlrev_b32_sdwa v1, v76, v78 dst_sel:DWORD dst_unused:UNUSED_PAD src0_sel:DWORD src1_sel:BYTE_0
	v_mul_lo_u16_sdwa v0, v3, v0 dst_sel:DWORD dst_unused:UNUSED_PAD src0_sel:BYTE_0 src1_sel:DWORD
	global_load_dwordx4 v[12:15], v1, s[12:13] offset:16
	global_load_dwordx4 v[16:19], v1, s[12:13]
	v_sub_u16_sdwa v1, v3, v0 dst_sel:DWORD dst_unused:UNUSED_PAD src0_sel:DWORD src1_sel:BYTE_1
	v_lshrrev_b16_e32 v1, 1, v1
	v_and_b32_e32 v1, 0x7f, v1
	v_add_u16_sdwa v0, v1, v0 dst_sel:DWORD dst_unused:UNUSED_PAD src0_sel:DWORD src1_sel:BYTE_1
	v_lshrrev_b16_e32 v79, 2, v0
	v_mul_lo_u16_e32 v0, 7, v79
	v_sub_u16_e32 v80, v3, v0
	v_lshlrev_b32_sdwa v0, v76, v80 dst_sel:DWORD dst_unused:UNUSED_PAD src0_sel:DWORD src1_sel:BYTE_0
	global_load_dwordx4 v[20:23], v0, s[12:13]
	global_load_dwordx4 v[24:27], v0, s[12:13] offset:16
	ds_read_b128 v[38:41], v33 offset:1008
	ds_read_b128 v[42:45], v33 offset:1344
	ds_read_b128 v[46:49], v36
	ds_read_b128 v[50:53], v33 offset:672
	ds_read_b128 v[54:57], v33 offset:2016
	;; [unrolled: 1-line block ×5, first 2 shown]
	v_lshlrev_b32_e32 v2, 4, v35
	v_add3_u32 v2, 0, v2, v37
	ds_read_b128 v[70:73], v2
	s_movk_i32 s0, 0x150
	v_mov_b32_e32 v81, 4
	v_mad_u32_u24 v74, v74, s0, 0
	v_lshlrev_b32_sdwa v75, v81, v75 dst_sel:DWORD dst_unused:UNUSED_PAD src0_sel:DWORD src1_sel:BYTE_0
	v_add3_u32 v82, v74, v75, v37
	s_mov_b32 s4, 0xe8584caa
	s_mov_b32 s5, 0x3febb67a
	;; [unrolled: 1-line block ×4, first 2 shown]
	v_mad_u32_u24 v77, v77, s0, 0
	v_lshlrev_b32_sdwa v78, v81, v78 dst_sel:DWORD dst_unused:UNUSED_PAD src0_sel:DWORD src1_sel:BYTE_0
	s_waitcnt lgkmcnt(0)
	; wave barrier
	s_waitcnt vmcnt(4) lgkmcnt(0)
	v_mul_f64 v[0:1], v[40:41], v[10:11]
	v_mul_f64 v[10:11], v[38:39], v[10:11]
	v_fma_f64 v[0:1], v[38:39], v[8:9], -v[0:1]
	v_fma_f64 v[8:9], v[40:41], v[8:9], v[10:11]
	v_mul_f64 v[10:11], v[56:57], v[6:7]
	v_mul_f64 v[6:7], v[54:55], v[6:7]
	s_waitcnt vmcnt(2)
	v_mul_f64 v[38:39], v[44:45], v[18:19]
	v_mul_f64 v[18:19], v[42:43], v[18:19]
	v_fma_f64 v[10:11], v[54:55], v[4:5], -v[10:11]
	v_fma_f64 v[6:7], v[56:57], v[4:5], v[6:7]
	v_mul_f64 v[4:5], v[64:65], v[14:15]
	v_mul_f64 v[14:15], v[62:63], v[14:15]
	s_waitcnt vmcnt(1)
	v_mul_f64 v[40:41], v[60:61], v[22:23]
	v_mul_f64 v[22:23], v[58:59], v[22:23]
	v_fma_f64 v[38:39], v[42:43], v[16:17], -v[38:39]
	v_fma_f64 v[16:17], v[44:45], v[16:17], v[18:19]
	s_waitcnt vmcnt(0)
	v_mul_f64 v[18:19], v[68:69], v[26:27]
	v_mul_f64 v[26:27], v[66:67], v[26:27]
	v_fma_f64 v[42:43], v[62:63], v[12:13], -v[4:5]
	v_fma_f64 v[12:13], v[64:65], v[12:13], v[14:15]
	v_fma_f64 v[4:5], v[58:59], v[20:21], -v[40:41]
	v_fma_f64 v[14:15], v[60:61], v[20:21], v[22:23]
	v_add_f64 v[22:23], v[46:47], v[0:1]
	v_add_f64 v[40:41], v[48:49], v[8:9]
	v_fma_f64 v[18:19], v[66:67], v[24:25], -v[18:19]
	v_fma_f64 v[20:21], v[68:69], v[24:25], v[26:27]
	v_add_f64 v[24:25], v[0:1], v[10:11]
	v_add_f64 v[26:27], v[8:9], -v[6:7]
	v_add_f64 v[8:9], v[8:9], v[6:7]
	v_add_f64 v[44:45], v[70:71], v[38:39]
	;; [unrolled: 1-line block ×3, first 2 shown]
	v_add_f64 v[56:57], v[16:17], -v[12:13]
	v_add_f64 v[58:59], v[72:73], v[16:17]
	v_add_f64 v[16:17], v[16:17], v[12:13]
	;; [unrolled: 1-line block ×4, first 2 shown]
	v_add_f64 v[0:1], v[0:1], -v[10:11]
	v_add_f64 v[60:61], v[38:39], -v[42:43]
	v_add_f64 v[38:39], v[50:51], v[4:5]
	v_add_f64 v[66:67], v[52:53], v[14:15]
	v_add_f64 v[74:75], v[4:5], -v[18:19]
	v_add_f64 v[4:5], v[22:23], v[10:11]
	v_fma_f64 v[22:23], v[24:25], -0.5, v[46:47]
	v_add_f64 v[6:7], v[40:41], v[6:7]
	v_fma_f64 v[24:25], v[8:9], -0.5, v[48:49]
	v_add_f64 v[8:9], v[44:45], v[42:43]
	v_fma_f64 v[40:41], v[54:55], -0.5, v[70:71]
	v_fma_f64 v[42:43], v[16:17], -0.5, v[72:73]
	v_add_f64 v[64:65], v[14:15], -v[20:21]
	v_fma_f64 v[44:45], v[62:63], -0.5, v[50:51]
	v_fma_f64 v[48:49], v[68:69], -0.5, v[52:53]
	v_add_f64 v[10:11], v[58:59], v[12:13]
	v_add_f64 v[12:13], v[38:39], v[18:19]
	;; [unrolled: 1-line block ×3, first 2 shown]
	v_fma_f64 v[16:17], v[26:27], s[4:5], v[22:23]
	v_fma_f64 v[20:21], v[26:27], s[6:7], v[22:23]
	;; [unrolled: 1-line block ×12, first 2 shown]
	v_add3_u32 v0, v77, v78, v37
	ds_write_b128 v82, v[4:7]
	ds_write_b128 v82, v[16:19] offset:112
	ds_write_b128 v82, v[20:23] offset:224
	ds_write_b128 v0, v[8:11]
	ds_write_b128 v0, v[24:27] offset:112
	ds_write_b128 v0, v[38:41] offset:224
	v_mad_u32_u24 v0, v79, s0, 0
	v_lshlrev_b32_sdwa v1, v81, v80 dst_sel:DWORD dst_unused:UNUSED_PAD src0_sel:DWORD src1_sel:BYTE_0
	v_add3_u32 v0, v0, v1, v37
	ds_write_b128 v0, v[12:15]
	ds_write_b128 v0, v[42:45] offset:112
	ds_write_b128 v0, v[46:49] offset:224
	v_lshlrev_b32_e32 v0, 1, v32
	v_mov_b32_e32 v1, 0
	v_lshlrev_b64 v[4:5], 4, v[0:1]
	v_mov_b32_e32 v82, s13
	v_add_co_u32_e64 v65, s[0:1], s12, v4
	v_addc_co_u32_e64 v66, s[0:1], v82, v5, s[0:1]
	s_movk_i32 s0, 0x87
	v_mul_lo_u16_sdwa v0, v3, s0 dst_sel:DWORD dst_unused:UNUSED_PAD src0_sel:BYTE_0 src1_sel:DWORD
	v_sub_u16_sdwa v12, v3, v0 dst_sel:DWORD dst_unused:UNUSED_PAD src0_sel:DWORD src1_sel:BYTE_1
	s_waitcnt lgkmcnt(0)
	; wave barrier
	s_waitcnt lgkmcnt(0)
	global_load_dwordx4 v[4:7], v[65:66], off offset:240
	global_load_dwordx4 v[8:11], v[65:66], off offset:224
	v_lshrrev_b16_e32 v12, 1, v12
	v_and_b32_e32 v12, 0x7f, v12
	v_add_u16_sdwa v0, v12, v0 dst_sel:DWORD dst_unused:UNUSED_PAD src0_sel:DWORD src1_sel:BYTE_1
	v_lshrrev_b16_e32 v0, 4, v0
	v_and_b32_e32 v0, 15, v0
	v_mul_lo_u16_e32 v0, 21, v0
	v_sub_u16_e32 v0, v3, v0
	v_lshlrev_b32_sdwa v20, v76, v0 dst_sel:DWORD dst_unused:UNUSED_PAD src0_sel:DWORD src1_sel:BYTE_0
	global_load_dwordx4 v[12:15], v20, s[12:13] offset:224
	global_load_dwordx4 v[16:19], v20, s[12:13] offset:240
	v_lshlrev_b32_sdwa v0, v81, v0 dst_sel:DWORD dst_unused:UNUSED_PAD src0_sel:DWORD src1_sel:BYTE_0
	v_add3_u32 v0, 0, v0, v37
	ds_read_b128 v[20:23], v2
	ds_read_b128 v[24:27], v33 offset:1008
	ds_read_b128 v[37:40], v33 offset:1344
	ds_read_b128 v[41:44], v36
	ds_read_b128 v[45:48], v33 offset:672
	ds_read_b128 v[49:52], v33 offset:2016
	ds_read_b128 v[53:56], v33 offset:1680
	ds_read_b128 v[57:60], v33 offset:2352
	ds_read_b128 v[61:64], v33 offset:2688
	s_waitcnt lgkmcnt(0)
	; wave barrier
	s_waitcnt vmcnt(3) lgkmcnt(0)
	v_mul_f64 v[71:72], v[51:52], v[6:7]
	s_waitcnt vmcnt(2)
	v_mul_f64 v[67:68], v[26:27], v[10:11]
	v_mul_f64 v[69:70], v[24:25], v[10:11]
	;; [unrolled: 1-line block ×7, first 2 shown]
	v_fma_f64 v[24:25], v[24:25], v[8:9], -v[67:68]
	v_fma_f64 v[26:27], v[26:27], v[8:9], v[69:70]
	s_waitcnt vmcnt(1)
	v_mul_f64 v[67:68], v[55:56], v[14:15]
	v_fma_f64 v[37:38], v[37:38], v[8:9], -v[73:74]
	v_fma_f64 v[8:9], v[39:40], v[8:9], v[10:11]
	v_mul_f64 v[10:11], v[53:54], v[14:15]
	s_waitcnt vmcnt(0)
	v_mul_f64 v[14:15], v[63:64], v[18:19]
	v_mul_f64 v[18:19], v[61:62], v[18:19]
	v_fma_f64 v[39:40], v[49:50], v[4:5], -v[71:72]
	v_fma_f64 v[49:50], v[51:52], v[4:5], v[75:76]
	v_fma_f64 v[51:52], v[57:58], v[4:5], -v[77:78]
	v_fma_f64 v[57:58], v[59:60], v[4:5], v[6:7]
	;; [unrolled: 2-line block ×4, first 2 shown]
	v_add_f64 v[10:11], v[41:42], v[24:25]
	v_add_f64 v[16:17], v[24:25], v[39:40]
	v_add_f64 v[18:19], v[26:27], -v[49:50]
	v_add_f64 v[53:54], v[43:44], v[26:27]
	v_add_f64 v[26:27], v[26:27], v[49:50]
	;; [unrolled: 1-line block ×8, first 2 shown]
	v_add_f64 v[24:25], v[24:25], -v[39:40]
	v_add_f64 v[69:70], v[37:38], -v[51:52]
	v_add_f64 v[37:38], v[45:46], v[4:5]
	v_add_f64 v[79:80], v[4:5], -v[12:13]
	v_add_f64 v[4:5], v[10:11], v[39:40]
	v_fma_f64 v[39:40], v[16:17], -0.5, v[41:42]
	v_fma_f64 v[26:27], v[26:27], -0.5, v[43:44]
	v_add_f64 v[61:62], v[8:9], -v[57:58]
	v_fma_f64 v[41:42], v[59:60], -0.5, v[20:21]
	v_fma_f64 v[43:44], v[67:68], -0.5, v[22:23]
	v_add_f64 v[75:76], v[47:48], v[6:7]
	v_add_f64 v[73:74], v[6:7], -v[14:15]
	v_fma_f64 v[45:46], v[71:72], -0.5, v[45:46]
	v_fma_f64 v[47:48], v[77:78], -0.5, v[47:48]
	v_add_f64 v[6:7], v[53:54], v[49:50]
	v_add_f64 v[8:9], v[55:56], v[51:52]
	;; [unrolled: 1-line block ×3, first 2 shown]
	v_fma_f64 v[16:17], v[18:19], s[4:5], v[39:40]
	v_fma_f64 v[20:21], v[18:19], s[6:7], v[39:40]
	;; [unrolled: 1-line block ×6, first 2 shown]
	v_add_f64 v[12:13], v[37:38], v[12:13]
	v_fma_f64 v[37:38], v[61:62], s[6:7], v[41:42]
	v_fma_f64 v[39:40], v[69:70], s[4:5], v[43:44]
	v_add_f64 v[14:15], v[75:76], v[14:15]
	v_fma_f64 v[41:42], v[73:74], s[4:5], v[45:46]
	v_fma_f64 v[43:44], v[79:80], s[6:7], v[47:48]
	;; [unrolled: 1-line block ×4, first 2 shown]
	ds_write_b128 v33, v[4:7]
	ds_write_b128 v33, v[8:11] offset:1008
	ds_write_b128 v33, v[16:19] offset:336
	;; [unrolled: 1-line block ×8, first 2 shown]
	s_waitcnt lgkmcnt(0)
	; wave barrier
	s_waitcnt lgkmcnt(0)
	global_load_dwordx4 v[4:7], v[65:66], off offset:912
	global_load_dwordx4 v[8:11], v[65:66], off offset:896
	v_lshlrev_b32_e32 v0, 1, v35
	v_lshlrev_b64 v[12:13], 4, v[0:1]
	v_lshlrev_b32_e32 v0, 1, v3
	v_add_co_u32_e64 v20, s[0:1], s12, v12
	v_addc_co_u32_e64 v21, s[0:1], v82, v13, s[0:1]
	global_load_dwordx4 v[12:15], v[20:21], off offset:912
	global_load_dwordx4 v[16:19], v[20:21], off offset:896
	v_lshlrev_b64 v[20:21], 4, v[0:1]
	v_add_co_u32_e64 v37, s[0:1], s12, v20
	v_addc_co_u32_e64 v38, s[0:1], v82, v21, s[0:1]
	global_load_dwordx4 v[20:23], v[37:38], off offset:896
	global_load_dwordx4 v[24:27], v[37:38], off offset:912
	ds_read_b128 v[37:40], v2
	ds_read_b128 v[41:44], v33 offset:1008
	ds_read_b128 v[45:48], v33 offset:1344
	ds_read_b128 v[49:52], v36
	ds_read_b128 v[53:56], v33 offset:672
	ds_read_b128 v[57:60], v33 offset:2016
	;; [unrolled: 1-line block ×5, first 2 shown]
	s_waitcnt lgkmcnt(0)
	; wave barrier
	s_waitcnt vmcnt(5) lgkmcnt(0)
	v_mul_f64 v[73:74], v[59:60], v[6:7]
	s_waitcnt vmcnt(4)
	v_mul_f64 v[35:36], v[43:44], v[10:11]
	v_mul_f64 v[10:11], v[41:42], v[10:11]
	v_mul_f64 v[6:7], v[57:58], v[6:7]
	s_waitcnt vmcnt(3)
	v_mul_f64 v[77:78], v[67:68], v[14:15]
	s_waitcnt vmcnt(2)
	v_mul_f64 v[75:76], v[47:48], v[18:19]
	v_mul_f64 v[18:19], v[45:46], v[18:19]
	v_fma_f64 v[35:36], v[41:42], v[8:9], -v[35:36]
	v_fma_f64 v[8:9], v[43:44], v[8:9], v[10:11]
	v_mul_f64 v[10:11], v[65:66], v[14:15]
	v_fma_f64 v[43:44], v[57:58], v[4:5], -v[73:74]
	s_waitcnt vmcnt(1)
	v_mul_f64 v[14:15], v[63:64], v[22:23]
	v_mul_f64 v[22:23], v[61:62], v[22:23]
	s_waitcnt vmcnt(0)
	v_mul_f64 v[41:42], v[71:72], v[26:27]
	v_fma_f64 v[5:6], v[59:60], v[4:5], v[6:7]
	v_mul_f64 v[3:4], v[69:70], v[26:27]
	v_fma_f64 v[26:27], v[45:46], v[16:17], -v[75:76]
	v_fma_f64 v[16:17], v[47:48], v[16:17], v[18:19]
	v_fma_f64 v[18:19], v[65:66], v[12:13], -v[77:78]
	v_fma_f64 v[10:11], v[67:68], v[12:13], v[10:11]
	;; [unrolled: 2-line block ×4, first 2 shown]
	v_add_f64 v[3:4], v[49:50], v[35:36]
	v_add_f64 v[24:25], v[35:36], v[43:44]
	v_add_f64 v[41:42], v[8:9], -v[5:6]
	v_add_f64 v[45:46], v[51:52], v[8:9]
	v_add_f64 v[7:8], v[8:9], v[5:6]
	;; [unrolled: 1-line block ×3, first 2 shown]
	v_add_f64 v[59:60], v[16:17], -v[10:11]
	v_add_f64 v[61:62], v[39:40], v[16:17]
	v_add_f64 v[16:17], v[16:17], v[10:11]
	;; [unrolled: 1-line block ×5, first 2 shown]
	v_add_f64 v[35:36], v[35:36], -v[43:44]
	v_add_f64 v[3:4], v[3:4], v[43:44]
	v_fma_f64 v[24:25], v[24:25], -0.5, v[49:50]
	v_fma_f64 v[43:44], v[7:8], -0.5, v[51:52]
	v_add_f64 v[63:64], v[26:27], -v[18:19]
	v_add_f64 v[26:27], v[53:54], v[12:13]
	v_add_f64 v[69:70], v[55:56], v[14:15]
	v_fma_f64 v[37:38], v[57:58], -0.5, v[37:38]
	v_fma_f64 v[39:40], v[16:17], -0.5, v[39:40]
	v_add_f64 v[67:68], v[14:15], -v[22:23]
	v_add_f64 v[73:74], v[12:13], -v[20:21]
	v_add_f64 v[5:6], v[45:46], v[5:6]
	v_add_f64 v[7:8], v[47:48], v[18:19]
	v_fma_f64 v[45:46], v[65:66], -0.5, v[53:54]
	v_fma_f64 v[47:48], v[71:72], -0.5, v[55:56]
	v_fma_f64 v[15:16], v[41:42], s[4:5], v[24:25]
	v_fma_f64 v[17:18], v[35:36], s[6:7], v[43:44]
	v_add_f64 v[9:10], v[61:62], v[10:11]
	v_add_f64 v[11:12], v[26:27], v[20:21]
	;; [unrolled: 1-line block ×3, first 2 shown]
	v_fma_f64 v[19:20], v[41:42], s[6:7], v[24:25]
	v_fma_f64 v[21:22], v[35:36], s[4:5], v[43:44]
	;; [unrolled: 1-line block ×10, first 2 shown]
	ds_write_b128 v33, v[3:6]
	ds_write_b128 v33, v[15:18] offset:1008
	ds_write_b128 v33, v[19:22] offset:2016
	ds_write_b128 v2, v[7:10]
	ds_write_b128 v2, v[23:26] offset:1008
	ds_write_b128 v2, v[35:38] offset:2016
	;; [unrolled: 1-line block ×5, first 2 shown]
	s_waitcnt lgkmcnt(0)
	; wave barrier
	s_waitcnt lgkmcnt(0)
	s_and_saveexec_b64 s[0:1], vcc
	s_cbranch_execz .LBB0_16
; %bb.15:
	v_mul_lo_u32 v0, s3, v30
	v_mul_lo_u32 v2, s2, v31
	v_mad_u64_u32 v[6:7], s[0:1], s2, v30, 0
	v_lshl_add_u32 v12, v32, 4, v34
	v_mov_b32_e32 v33, v1
	v_add3_u32 v7, v7, v2, v0
	v_lshlrev_b64 v[6:7], 4, v[6:7]
	v_mov_b32_e32 v0, s11
	v_add_co_u32_e32 v8, vcc, s10, v6
	v_addc_co_u32_e32 v0, vcc, v0, v7, vcc
	v_lshlrev_b64 v[6:7], 4, v[28:29]
	ds_read_b128 v[2:5], v12
	v_add_co_u32_e32 v13, vcc, v8, v6
	v_addc_co_u32_e32 v14, vcc, v0, v7, vcc
	v_lshlrev_b64 v[6:7], 4, v[32:33]
	v_add_u32_e32 v0, 21, v32
	v_add_co_u32_e32 v10, vcc, v13, v6
	v_addc_co_u32_e32 v11, vcc, v14, v7, vcc
	ds_read_b128 v[6:9], v12 offset:336
	s_waitcnt lgkmcnt(1)
	global_store_dwordx4 v[10:11], v[2:5], off
	s_nop 0
	v_lshlrev_b64 v[2:3], 4, v[0:1]
	v_add_u32_e32 v0, 42, v32
	v_add_co_u32_e32 v2, vcc, v13, v2
	v_addc_co_u32_e32 v3, vcc, v14, v3, vcc
	s_waitcnt lgkmcnt(0)
	global_store_dwordx4 v[2:3], v[6:9], off
	ds_read_b128 v[2:5], v12 offset:672
	v_lshlrev_b64 v[6:7], 4, v[0:1]
	v_add_u32_e32 v0, 63, v32
	v_add_co_u32_e32 v10, vcc, v13, v6
	v_addc_co_u32_e32 v11, vcc, v14, v7, vcc
	ds_read_b128 v[6:9], v12 offset:1008
	s_waitcnt lgkmcnt(1)
	global_store_dwordx4 v[10:11], v[2:5], off
	s_nop 0
	v_lshlrev_b64 v[2:3], 4, v[0:1]
	v_add_u32_e32 v0, 0x54, v32
	v_add_co_u32_e32 v2, vcc, v13, v2
	v_addc_co_u32_e32 v3, vcc, v14, v3, vcc
	s_waitcnt lgkmcnt(0)
	global_store_dwordx4 v[2:3], v[6:9], off
	ds_read_b128 v[2:5], v12 offset:1344
	;; [unrolled: 15-line block ×4, first 2 shown]
	v_lshlrev_b64 v[0:1], 4, v[0:1]
	v_add_co_u32_e32 v0, vcc, v13, v0
	v_addc_co_u32_e32 v1, vcc, v14, v1, vcc
	s_waitcnt lgkmcnt(0)
	global_store_dwordx4 v[0:1], v[2:5], off
.LBB0_16:
	s_endpgm
	.section	.rodata,"a",@progbits
	.p2align	6, 0x0
	.amdhsa_kernel fft_rtc_fwd_len189_factors_7_3_3_3_wgs_63_tpt_21_dp_op_CI_CI_unitstride_sbrr_dirReg
		.amdhsa_group_segment_fixed_size 0
		.amdhsa_private_segment_fixed_size 0
		.amdhsa_kernarg_size 104
		.amdhsa_user_sgpr_count 6
		.amdhsa_user_sgpr_private_segment_buffer 1
		.amdhsa_user_sgpr_dispatch_ptr 0
		.amdhsa_user_sgpr_queue_ptr 0
		.amdhsa_user_sgpr_kernarg_segment_ptr 1
		.amdhsa_user_sgpr_dispatch_id 0
		.amdhsa_user_sgpr_flat_scratch_init 0
		.amdhsa_user_sgpr_private_segment_size 0
		.amdhsa_uses_dynamic_stack 0
		.amdhsa_system_sgpr_private_segment_wavefront_offset 0
		.amdhsa_system_sgpr_workgroup_id_x 1
		.amdhsa_system_sgpr_workgroup_id_y 0
		.amdhsa_system_sgpr_workgroup_id_z 0
		.amdhsa_system_sgpr_workgroup_info 0
		.amdhsa_system_vgpr_workitem_id 0
		.amdhsa_next_free_vgpr 83
		.amdhsa_next_free_sgpr 30
		.amdhsa_reserve_vcc 1
		.amdhsa_reserve_flat_scratch 0
		.amdhsa_float_round_mode_32 0
		.amdhsa_float_round_mode_16_64 0
		.amdhsa_float_denorm_mode_32 3
		.amdhsa_float_denorm_mode_16_64 3
		.amdhsa_dx10_clamp 1
		.amdhsa_ieee_mode 1
		.amdhsa_fp16_overflow 0
		.amdhsa_exception_fp_ieee_invalid_op 0
		.amdhsa_exception_fp_denorm_src 0
		.amdhsa_exception_fp_ieee_div_zero 0
		.amdhsa_exception_fp_ieee_overflow 0
		.amdhsa_exception_fp_ieee_underflow 0
		.amdhsa_exception_fp_ieee_inexact 0
		.amdhsa_exception_int_div_zero 0
	.end_amdhsa_kernel
	.text
.Lfunc_end0:
	.size	fft_rtc_fwd_len189_factors_7_3_3_3_wgs_63_tpt_21_dp_op_CI_CI_unitstride_sbrr_dirReg, .Lfunc_end0-fft_rtc_fwd_len189_factors_7_3_3_3_wgs_63_tpt_21_dp_op_CI_CI_unitstride_sbrr_dirReg
                                        ; -- End function
	.section	.AMDGPU.csdata,"",@progbits
; Kernel info:
; codeLenInByte = 6528
; NumSgprs: 34
; NumVgprs: 83
; ScratchSize: 0
; MemoryBound: 0
; FloatMode: 240
; IeeeMode: 1
; LDSByteSize: 0 bytes/workgroup (compile time only)
; SGPRBlocks: 4
; VGPRBlocks: 20
; NumSGPRsForWavesPerEU: 34
; NumVGPRsForWavesPerEU: 83
; Occupancy: 3
; WaveLimiterHint : 1
; COMPUTE_PGM_RSRC2:SCRATCH_EN: 0
; COMPUTE_PGM_RSRC2:USER_SGPR: 6
; COMPUTE_PGM_RSRC2:TRAP_HANDLER: 0
; COMPUTE_PGM_RSRC2:TGID_X_EN: 1
; COMPUTE_PGM_RSRC2:TGID_Y_EN: 0
; COMPUTE_PGM_RSRC2:TGID_Z_EN: 0
; COMPUTE_PGM_RSRC2:TIDIG_COMP_CNT: 0
	.type	__hip_cuid_6918fbff3f8c5ce4,@object ; @__hip_cuid_6918fbff3f8c5ce4
	.section	.bss,"aw",@nobits
	.globl	__hip_cuid_6918fbff3f8c5ce4
__hip_cuid_6918fbff3f8c5ce4:
	.byte	0                               ; 0x0
	.size	__hip_cuid_6918fbff3f8c5ce4, 1

	.ident	"AMD clang version 19.0.0git (https://github.com/RadeonOpenCompute/llvm-project roc-6.4.0 25133 c7fe45cf4b819c5991fe208aaa96edf142730f1d)"
	.section	".note.GNU-stack","",@progbits
	.addrsig
	.addrsig_sym __hip_cuid_6918fbff3f8c5ce4
	.amdgpu_metadata
---
amdhsa.kernels:
  - .args:
      - .actual_access:  read_only
        .address_space:  global
        .offset:         0
        .size:           8
        .value_kind:     global_buffer
      - .offset:         8
        .size:           8
        .value_kind:     by_value
      - .actual_access:  read_only
        .address_space:  global
        .offset:         16
        .size:           8
        .value_kind:     global_buffer
      - .actual_access:  read_only
        .address_space:  global
        .offset:         24
        .size:           8
        .value_kind:     global_buffer
      - .actual_access:  read_only
        .address_space:  global
        .offset:         32
        .size:           8
        .value_kind:     global_buffer
      - .offset:         40
        .size:           8
        .value_kind:     by_value
      - .actual_access:  read_only
        .address_space:  global
        .offset:         48
        .size:           8
        .value_kind:     global_buffer
      - .actual_access:  read_only
        .address_space:  global
        .offset:         56
        .size:           8
        .value_kind:     global_buffer
      - .offset:         64
        .size:           4
        .value_kind:     by_value
      - .actual_access:  read_only
        .address_space:  global
        .offset:         72
        .size:           8
        .value_kind:     global_buffer
      - .actual_access:  read_only
        .address_space:  global
        .offset:         80
        .size:           8
        .value_kind:     global_buffer
      - .actual_access:  read_only
        .address_space:  global
        .offset:         88
        .size:           8
        .value_kind:     global_buffer
      - .actual_access:  write_only
        .address_space:  global
        .offset:         96
        .size:           8
        .value_kind:     global_buffer
    .group_segment_fixed_size: 0
    .kernarg_segment_align: 8
    .kernarg_segment_size: 104
    .language:       OpenCL C
    .language_version:
      - 2
      - 0
    .max_flat_workgroup_size: 63
    .name:           fft_rtc_fwd_len189_factors_7_3_3_3_wgs_63_tpt_21_dp_op_CI_CI_unitstride_sbrr_dirReg
    .private_segment_fixed_size: 0
    .sgpr_count:     34
    .sgpr_spill_count: 0
    .symbol:         fft_rtc_fwd_len189_factors_7_3_3_3_wgs_63_tpt_21_dp_op_CI_CI_unitstride_sbrr_dirReg.kd
    .uniform_work_group_size: 1
    .uses_dynamic_stack: false
    .vgpr_count:     83
    .vgpr_spill_count: 0
    .wavefront_size: 64
amdhsa.target:   amdgcn-amd-amdhsa--gfx906
amdhsa.version:
  - 1
  - 2
...

	.end_amdgpu_metadata
